;; amdgpu-corpus repo=zjin-lcf/HeCBench kind=compiled arch=gfx950 opt=O3
	.amdgcn_target "amdgcn-amd-amdhsa--gfx950"
	.amdhsa_code_object_version 6
	.text
	.protected	_Z18kernel_512_one_128PKfS0_S0_S0_Pf ; -- Begin function _Z18kernel_512_one_128PKfS0_S0_S0_Pf
	.globl	_Z18kernel_512_one_128PKfS0_S0_S0_Pf
	.p2align	8
	.type	_Z18kernel_512_one_128PKfS0_S0_S0_Pf,@function
_Z18kernel_512_one_128PKfS0_S0_S0_Pf:   ; @_Z18kernel_512_one_128PKfS0_S0_S0_Pf
; %bb.0:
	s_load_dwordx8 s[4:11], s[0:1], 0x0
	v_and_b32_e32 v1, 0x3ff, v0
	v_bfe_u32 v8, v0, 10, 10
	v_lshl_add_u32 v0, v8, 7, v1
	v_lshl_add_u32 v2, s2, 11, v0
	v_ashrrev_i32_e32 v3, 31, v2
	v_add_u32_e32 v6, 0x400, v2
	s_waitcnt lgkmcnt(0)
	v_lshl_add_u64 v[4:5], v[2:3], 2, s[4:5]
	v_ashrrev_i32_e32 v7, 31, v6
	v_add_u32_e32 v2, 0x600, v2
	v_lshl_add_u64 v[6:7], v[6:7], 2, s[4:5]
	v_ashrrev_i32_e32 v3, 31, v2
	v_lshlrev_b32_e32 v1, 2, v1
	v_lshl_add_u64 v[2:3], v[2:3], 2, s[4:5]
	global_load_dword v10, v[4:5], off
	global_load_dword v11, v[4:5], off offset:2048
	global_load_dword v12, v[6:7], off
	global_load_dword v13, v[2:3], off
	s_nop 0
	global_load_dword v7, v1, s[8:9]
	global_load_dword v14, v1, s[10:11]
	s_load_dwordx2 s[0:1], s[0:1], 0x20
	v_mov_b32_e32 v9, 0
	v_lshl_add_u32 v5, v8, 11, 0
	v_lshlrev_b32_e32 v8, 2, v0
	v_add_u32_e32 v4, 0, v1
	s_mov_b32 s5, 0
	s_movk_i32 s3, 0x2000
	s_movk_i32 s8, 0x3000
	;; [unrolled: 1-line block ×5, first 2 shown]
	v_add_u32_e32 v1, 0, v8
	v_add_u32_e32 v6, 0x2000, v4
	v_lshl_add_u64 v[2:3], s[6:7], 0, v[8:9]
	s_mov_b32 s6, 0
	s_waitcnt vmcnt(4)
	ds_write2st64_b32 v1, v10, v11 offset1:8
	s_waitcnt vmcnt(2)
	ds_write2st64_b32 v1, v12, v13 offset0:16 offset1:24
	s_waitcnt vmcnt(0)
	ds_write2st64_b32 v4, v7, v14 offset0:168 offset1:170
	ds_write_b32 v1, v9 offset:40960
	s_waitcnt lgkmcnt(0)
	s_barrier
.LBB0_1:                                ; =>This Loop Header: Depth=1
                                        ;     Child Loop BB0_2 Depth 2
	s_lshl_b32 s4, s6, 7
	v_lshl_add_u64 v[8:9], s[4:5], 2, v[2:3]
	v_add_co_u32_e32 v10, vcc, 0x1000, v8
	s_mov_b32 s4, 0
	s_nop 0
	v_addc_co_u32_e32 v11, vcc, 0, v9, vcc
	v_add_co_u32_e32 v12, vcc, s3, v8
	s_nop 1
	v_addc_co_u32_e32 v13, vcc, 0, v9, vcc
	v_add_co_u32_e32 v14, vcc, s8, v8
	;; [unrolled: 3-line block ×5, first 2 shown]
	s_nop 1
	v_addc_co_u32_e32 v21, vcc, 0, v9, vcc
	global_load_dword v7, v[8:9], off
	global_load_dword v22, v[8:9], off offset:2048
	global_load_dword v23, v[10:11], off
	global_load_dword v24, v[10:11], off offset:2048
	global_load_dword v25, v[12:13], off offset:2048
	;; [unrolled: 1-line block ×3, first 2 shown]
	global_load_dword v27, v[20:21], off
	global_load_dword v28, v[20:21], off offset:2048
	v_add_co_u32_e32 v8, vcc, 0x7000, v8
	s_nop 1
	v_addc_co_u32_e32 v9, vcc, 0, v9, vcc
	global_load_dword v10, v[14:15], off offset:-4096
	global_load_dword v11, v[14:15], off
	global_load_dword v12, v[14:15], off offset:2048
	global_load_dword v13, v[18:19], off offset:-4096
	global_load_dword v16, v[18:19], off
	global_load_dword v17, v[18:19], off offset:2048
	global_load_dword v20, v[8:9], off
	global_load_dword v21, v[8:9], off offset:2048
	v_mov_b32_e32 v8, v6
	s_waitcnt vmcnt(14)
	ds_write2st64_b32 v1, v7, v22 offset0:32 offset1:40
	s_waitcnt vmcnt(12)
	ds_write2st64_b32 v1, v23, v24 offset0:48 offset1:56
	;; [unrolled: 2-line block ×6, first 2 shown]
	ds_write2st64_b32 v1, v27, v28 offset0:128 offset1:136
	s_waitcnt vmcnt(0)
	ds_write2st64_b32 v1, v20, v21 offset0:144 offset1:152
	s_waitcnt lgkmcnt(0)
	s_barrier
	ds_read_b32 v7, v1 offset:40960
.LBB0_2:                                ;   Parent Loop BB0_1 Depth=1
                                        ; =>  This Inner Loop Header: Depth=2
	v_add_u32_e32 v9, s4, v5
	ds_read_b32 v10, v8
	ds_read_b32 v11, v9
	s_add_i32 s4, s4, 64
	s_cmpk_eq_i32 s4, 0x100
	s_waitcnt lgkmcnt(0)
	v_fmac_f32_e32 v7, v11, v10
	ds_write_b32 v1, v7 offset:40960
	ds_read_b32 v10, v9 offset:4
	ds_read_b32 v11, v8 offset:512
	s_waitcnt lgkmcnt(0)
	v_fmac_f32_e32 v7, v10, v11
	ds_write_b32 v1, v7 offset:40960
	ds_read_b32 v10, v9 offset:8
	ds_read_b32 v11, v8 offset:1024
	;; [unrolled: 5-line block ×15, first 2 shown]
	v_add_u32_e32 v8, 0x2000, v8
	s_waitcnt lgkmcnt(0)
	v_fmac_f32_e32 v7, v9, v10
	ds_write_b32 v1, v7 offset:40960
	s_cbranch_scc0 .LBB0_2
; %bb.3:                                ;   in Loop: Header=BB0_1 Depth=1
	s_add_i32 s4, s6, 64
	v_add_u32_e32 v5, 0x100, v5
	s_cmpk_gt_u32 s6, 0x1bf
	s_mov_b32 s6, s4
	s_waitcnt lgkmcnt(0)
	s_barrier
	s_cbranch_scc0 .LBB0_1
; %bb.4:
	ds_read2st64_b32 v[2:3], v4 offset0:168 offset1:170
	ds_read_b32 v1, v1 offset:40960
	s_lshl_b32 s2, s2, 9
	s_ashr_i32 s3, s2, 31
	s_lshl_b64 s[2:3], s[2:3], 2
	s_add_u32 s0, s0, s2
	s_waitcnt lgkmcnt(0)
	v_fmac_f32_e32 v2, v3, v1
	s_addc_u32 s1, s1, s3
	v_max_f32_e32 v1, 0, v2
	v_lshlrev_b32_e32 v0, 2, v0
	global_store_dword v0, v1, s[0:1]
	s_endpgm
	.section	.rodata,"a",@progbits
	.p2align	6, 0x0
	.amdhsa_kernel _Z18kernel_512_one_128PKfS0_S0_S0_Pf
		.amdhsa_group_segment_fixed_size 0
		.amdhsa_private_segment_fixed_size 0
		.amdhsa_kernarg_size 40
		.amdhsa_user_sgpr_count 2
		.amdhsa_user_sgpr_dispatch_ptr 0
		.amdhsa_user_sgpr_queue_ptr 0
		.amdhsa_user_sgpr_kernarg_segment_ptr 1
		.amdhsa_user_sgpr_dispatch_id 0
		.amdhsa_user_sgpr_kernarg_preload_length 0
		.amdhsa_user_sgpr_kernarg_preload_offset 0
		.amdhsa_user_sgpr_private_segment_size 0
		.amdhsa_uses_dynamic_stack 0
		.amdhsa_enable_private_segment 0
		.amdhsa_system_sgpr_workgroup_id_x 1
		.amdhsa_system_sgpr_workgroup_id_y 0
		.amdhsa_system_sgpr_workgroup_id_z 0
		.amdhsa_system_sgpr_workgroup_info 0
		.amdhsa_system_vgpr_workitem_id 1
		.amdhsa_next_free_vgpr 29
		.amdhsa_next_free_sgpr 12
		.amdhsa_accum_offset 32
		.amdhsa_reserve_vcc 1
		.amdhsa_float_round_mode_32 0
		.amdhsa_float_round_mode_16_64 0
		.amdhsa_float_denorm_mode_32 3
		.amdhsa_float_denorm_mode_16_64 3
		.amdhsa_dx10_clamp 1
		.amdhsa_ieee_mode 1
		.amdhsa_fp16_overflow 0
		.amdhsa_tg_split 0
		.amdhsa_exception_fp_ieee_invalid_op 0
		.amdhsa_exception_fp_denorm_src 0
		.amdhsa_exception_fp_ieee_div_zero 0
		.amdhsa_exception_fp_ieee_overflow 0
		.amdhsa_exception_fp_ieee_underflow 0
		.amdhsa_exception_fp_ieee_inexact 0
		.amdhsa_exception_int_div_zero 0
	.end_amdhsa_kernel
	.text
.Lfunc_end0:
	.size	_Z18kernel_512_one_128PKfS0_S0_S0_Pf, .Lfunc_end0-_Z18kernel_512_one_128PKfS0_S0_S0_Pf
                                        ; -- End function
	.set _Z18kernel_512_one_128PKfS0_S0_S0_Pf.num_vgpr, 29
	.set _Z18kernel_512_one_128PKfS0_S0_S0_Pf.num_agpr, 0
	.set _Z18kernel_512_one_128PKfS0_S0_S0_Pf.numbered_sgpr, 12
	.set _Z18kernel_512_one_128PKfS0_S0_S0_Pf.num_named_barrier, 0
	.set _Z18kernel_512_one_128PKfS0_S0_S0_Pf.private_seg_size, 0
	.set _Z18kernel_512_one_128PKfS0_S0_S0_Pf.uses_vcc, 1
	.set _Z18kernel_512_one_128PKfS0_S0_S0_Pf.uses_flat_scratch, 0
	.set _Z18kernel_512_one_128PKfS0_S0_S0_Pf.has_dyn_sized_stack, 0
	.set _Z18kernel_512_one_128PKfS0_S0_S0_Pf.has_recursion, 0
	.set _Z18kernel_512_one_128PKfS0_S0_S0_Pf.has_indirect_call, 0
	.section	.AMDGPU.csdata,"",@progbits
; Kernel info:
; codeLenInByte = 1260
; TotalNumSgprs: 18
; NumVgprs: 29
; NumAgprs: 0
; TotalNumVgprs: 29
; ScratchSize: 0
; MemoryBound: 0
; FloatMode: 240
; IeeeMode: 1
; LDSByteSize: 0 bytes/workgroup (compile time only)
; SGPRBlocks: 2
; VGPRBlocks: 3
; NumSGPRsForWavesPerEU: 18
; NumVGPRsForWavesPerEU: 29
; AccumOffset: 32
; Occupancy: 8
; WaveLimiterHint : 1
; COMPUTE_PGM_RSRC2:SCRATCH_EN: 0
; COMPUTE_PGM_RSRC2:USER_SGPR: 2
; COMPUTE_PGM_RSRC2:TRAP_HANDLER: 0
; COMPUTE_PGM_RSRC2:TGID_X_EN: 1
; COMPUTE_PGM_RSRC2:TGID_Y_EN: 0
; COMPUTE_PGM_RSRC2:TGID_Z_EN: 0
; COMPUTE_PGM_RSRC2:TIDIG_COMP_CNT: 1
; COMPUTE_PGM_RSRC3_GFX90A:ACCUM_OFFSET: 7
; COMPUTE_PGM_RSRC3_GFX90A:TG_SPLIT: 0
	.text
	.protected	_Z18kernel_128_one_512PKfS0_S0_S0_Pf ; -- Begin function _Z18kernel_128_one_512PKfS0_S0_S0_Pf
	.globl	_Z18kernel_128_one_512PKfS0_S0_S0_Pf
	.p2align	8
	.type	_Z18kernel_128_one_512PKfS0_S0_S0_Pf,@function
_Z18kernel_128_one_512PKfS0_S0_S0_Pf:   ; @_Z18kernel_128_one_512PKfS0_S0_S0_Pf
; %bb.0:
	s_load_dwordx8 s[4:11], s[0:1], 0x0
	v_and_b32_e32 v2, 0x3ff, v0
	v_bfe_u32 v3, v0, 10, 10
	v_lshl_add_u32 v8, v3, 7, v2
	v_lshl_add_u32 v0, s2, 9, v8
	v_ashrrev_i32_e32 v1, 31, v0
	s_waitcnt lgkmcnt(0)
	v_lshl_add_u64 v[0:1], v[0:1], 2, s[4:5]
	s_lshl_b32 s4, s3, 7
	global_load_dword v38, v[0:1], off
	v_add_u32_e32 v0, s4, v2
	v_ashrrev_i32_e32 v1, 31, v0
	v_lshlrev_b64 v[4:5], 2, v[0:1]
	v_lshl_add_u64 v[6:7], s[8:9], 0, v[4:5]
	v_lshl_add_u64 v[4:5], s[10:11], 0, v[4:5]
	global_load_dword v39, v[6:7], off
	global_load_dword v40, v[4:5], off
	v_lshlrev_b32_e32 v3, 9, v3
	v_add_u32_e32 v0, v0, v3
	v_add_u32_e32 v6, 0x800, v0
	v_lshl_add_u32 v5, v8, 2, 0
	v_ashrrev_i32_e32 v1, 31, v0
	v_add_u32_e32 v8, 0x1000, v0
	v_add_u32_e32 v10, 0x1800, v0
	;; [unrolled: 1-line block ×14, first 2 shown]
	v_ashrrev_i32_e32 v7, 31, v6
	v_mov_b32_e32 v41, 0
	v_ashrrev_i32_e32 v9, 31, v8
	v_ashrrev_i32_e32 v11, 31, v10
	;; [unrolled: 1-line block ×14, first 2 shown]
	v_lshl_add_u64 v[36:37], v[0:1], 2, s[6:7]
	v_lshl_add_u64 v[6:7], v[6:7], 2, s[6:7]
	v_lshl_add_u32 v4, v2, 2, 0
	v_lshl_add_u64 v[8:9], v[8:9], 2, s[6:7]
	v_lshl_add_u64 v[10:11], v[10:11], 2, s[6:7]
	;; [unrolled: 1-line block ×14, first 2 shown]
	s_load_dwordx2 s[0:1], s[0:1], 0x20
	s_mov_b32 s3, 0
	s_waitcnt vmcnt(2)
	ds_write_b32 v5, v38
	s_waitcnt vmcnt(0)
	ds_write2st64_b32 v4, v39, v40 offset0:144 offset1:146
	ds_write_b32 v5, v41 offset:34816
	s_waitcnt lgkmcnt(0)
	s_barrier
	global_load_dword v1, v[36:37], off
	global_load_dword v38, v[6:7], off
	;; [unrolled: 1-line block ×15, first 2 shown]
                                        ; kill: killed $vgpr32_vgpr33
                                        ; kill: killed $vgpr16_vgpr17
                                        ; kill: killed $vgpr22_vgpr23
                                        ; kill: killed $vgpr6_vgpr7
                                        ; kill: killed $vgpr28_vgpr29
                                        ; kill: killed $vgpr12_vgpr13
                                        ; kill: killed $vgpr18_vgpr19
                                        ; kill: killed $vgpr24_vgpr25
                                        ; kill: killed $vgpr8_vgpr9
                                        ; kill: killed $vgpr30_vgpr31
                                        ; kill: killed $vgpr14_vgpr15
                                        ; kill: killed $vgpr20_vgpr21
                                        ; kill: killed $vgpr36_vgpr37
                                        ; kill: killed $vgpr26_vgpr27
                                        ; kill: killed $vgpr10_vgpr11
	global_load_dword v6, v[34:35], off
	s_waitcnt vmcnt(14)
	ds_write2st64_b32 v5, v1, v38 offset0:8 offset1:16
	s_waitcnt vmcnt(12)
	ds_write2st64_b32 v5, v39, v40 offset0:24 offset1:32
	;; [unrolled: 2-line block ×8, first 2 shown]
	s_waitcnt lgkmcnt(0)
	s_barrier
	ds_read_b32 v7, v5 offset:34816
	v_add_u32_e32 v1, 0x800, v4
	v_add_u32_e32 v6, 0, v3
	v_mov_b32_e32 v8, v1
.LBB1_1:                                ; =>This Inner Loop Header: Depth=1
	v_add_u32_e32 v9, s3, v6
	ds_read_b32 v10, v8
	ds_read_b32 v11, v9
	s_add_i32 s3, s3, 64
	s_cmpk_eq_i32 s3, 0x100
	s_waitcnt lgkmcnt(0)
	v_fmac_f32_e32 v7, v11, v10
	ds_write_b32 v5, v7 offset:34816
	ds_read_b32 v10, v9 offset:4
	ds_read_b32 v11, v8 offset:512
	s_waitcnt lgkmcnt(0)
	v_fmac_f32_e32 v7, v10, v11
	ds_write_b32 v5, v7 offset:34816
	ds_read_b32 v10, v9 offset:8
	ds_read_b32 v11, v8 offset:1024
	;; [unrolled: 5-line block ×15, first 2 shown]
	v_add_u32_e32 v8, 0x2000, v8
	s_waitcnt lgkmcnt(0)
	v_fmac_f32_e32 v7, v9, v10
	ds_write_b32 v5, v7 offset:34816
	s_cbranch_scc0 .LBB1_1
; %bb.2:
	v_add_u32_e32 v8, 0x8000, v0
	v_ashrrev_i32_e32 v9, 31, v8
	v_add_u32_e32 v10, 0x8800, v0
	v_add_u32_e32 v12, 0x9000, v0
	;; [unrolled: 1-line block ×7, first 2 shown]
	v_lshl_add_u64 v[8:9], v[8:9], 2, s[6:7]
	v_ashrrev_i32_e32 v11, 31, v10
	v_ashrrev_i32_e32 v13, 31, v12
	;; [unrolled: 1-line block ×7, first 2 shown]
	s_waitcnt lgkmcnt(0)
	s_barrier
	v_lshl_add_u64 v[10:11], v[10:11], 2, s[6:7]
	v_lshl_add_u64 v[12:13], v[12:13], 2, s[6:7]
	;; [unrolled: 1-line block ×7, first 2 shown]
	global_load_dword v7, v[8:9], off
	global_load_dword v24, v[10:11], off
	;; [unrolled: 1-line block ×8, first 2 shown]
	v_add_u32_e32 v8, 0xc000, v0
	v_ashrrev_i32_e32 v9, 31, v8
	v_add_u32_e32 v10, 0xc800, v0
	v_add_u32_e32 v12, 0xd000, v0
	;; [unrolled: 1-line block ×7, first 2 shown]
	v_lshl_add_u64 v[8:9], v[8:9], 2, s[6:7]
	v_ashrrev_i32_e32 v11, 31, v10
	v_ashrrev_i32_e32 v13, 31, v12
	;; [unrolled: 1-line block ×7, first 2 shown]
	v_lshl_add_u64 v[10:11], v[10:11], 2, s[6:7]
	v_lshl_add_u64 v[12:13], v[12:13], 2, s[6:7]
	;; [unrolled: 1-line block ×7, first 2 shown]
	global_load_dword v0, v[8:9], off
	global_load_dword v31, v[10:11], off
	global_load_dword v32, v[12:13], off
	global_load_dword v33, v[14:15], off
	global_load_dword v34, v[16:17], off
	global_load_dword v35, v[18:19], off
	global_load_dword v36, v[20:21], off
	global_load_dword v37, v[22:23], off
	s_mov_b32 s3, 0
	v_add_u32_e32 v6, 0x100, v6
	s_waitcnt vmcnt(14)
	ds_write2st64_b32 v5, v7, v24 offset0:8 offset1:16
	s_waitcnt vmcnt(12)
	ds_write2st64_b32 v5, v25, v26 offset0:24 offset1:32
	;; [unrolled: 2-line block ×8, first 2 shown]
	s_waitcnt lgkmcnt(0)
	s_barrier
	ds_read_b32 v0, v5 offset:34816
.LBB1_3:                                ; =>This Inner Loop Header: Depth=1
	v_add_u32_e32 v7, s3, v6
	ds_read_b32 v8, v1
	ds_read_b32 v9, v7
	s_add_i32 s3, s3, 64
	s_cmpk_lg_i32 s3, 0x100
	s_waitcnt lgkmcnt(0)
	v_fmac_f32_e32 v0, v9, v8
	ds_write_b32 v5, v0 offset:34816
	ds_read_b32 v8, v7 offset:4
	ds_read_b32 v9, v1 offset:512
	s_waitcnt lgkmcnt(0)
	v_fmac_f32_e32 v0, v8, v9
	ds_write_b32 v5, v0 offset:34816
	ds_read_b32 v8, v7 offset:8
	ds_read_b32 v9, v1 offset:1024
	;; [unrolled: 5-line block ×15, first 2 shown]
	v_add_u32_e32 v1, 0x2000, v1
	s_waitcnt lgkmcnt(0)
	v_fmac_f32_e32 v0, v7, v8
	ds_write_b32 v5, v0 offset:34816
	s_cbranch_scc1 .LBB1_3
; %bb.4:
	s_lshl_b32 s2, s2, 11
	s_ashr_i32 s3, s2, 31
	s_waitcnt lgkmcnt(0)
	s_barrier
	s_lshl_b64 s[2:3], s[2:3], 2
	ds_read2st64_b32 v[0:1], v4 offset0:144 offset1:146
	ds_read_b32 v4, v5 offset:34816
	s_add_u32 s2, s0, s2
	s_addc_u32 s3, s1, s3
	s_ashr_i32 s5, s4, 31
	s_lshl_b64 s[0:1], s[4:5], 2
	s_add_u32 s0, s2, s0
	s_addc_u32 s1, s3, s1
	s_waitcnt lgkmcnt(0)
	v_fmac_f32_e32 v0, v1, v4
	v_add_lshl_u32 v1, v3, v2, 2
	global_store_dword v1, v0, s[0:1]
	s_endpgm
	.section	.rodata,"a",@progbits
	.p2align	6, 0x0
	.amdhsa_kernel _Z18kernel_128_one_512PKfS0_S0_S0_Pf
		.amdhsa_group_segment_fixed_size 0
		.amdhsa_private_segment_fixed_size 0
		.amdhsa_kernarg_size 40
		.amdhsa_user_sgpr_count 2
		.amdhsa_user_sgpr_dispatch_ptr 0
		.amdhsa_user_sgpr_queue_ptr 0
		.amdhsa_user_sgpr_kernarg_segment_ptr 1
		.amdhsa_user_sgpr_dispatch_id 0
		.amdhsa_user_sgpr_kernarg_preload_length 0
		.amdhsa_user_sgpr_kernarg_preload_offset 0
		.amdhsa_user_sgpr_private_segment_size 0
		.amdhsa_uses_dynamic_stack 0
		.amdhsa_enable_private_segment 0
		.amdhsa_system_sgpr_workgroup_id_x 1
		.amdhsa_system_sgpr_workgroup_id_y 1
		.amdhsa_system_sgpr_workgroup_id_z 0
		.amdhsa_system_sgpr_workgroup_info 0
		.amdhsa_system_vgpr_workitem_id 1
		.amdhsa_next_free_vgpr 52
		.amdhsa_next_free_sgpr 12
		.amdhsa_accum_offset 52
		.amdhsa_reserve_vcc 0
		.amdhsa_float_round_mode_32 0
		.amdhsa_float_round_mode_16_64 0
		.amdhsa_float_denorm_mode_32 3
		.amdhsa_float_denorm_mode_16_64 3
		.amdhsa_dx10_clamp 1
		.amdhsa_ieee_mode 1
		.amdhsa_fp16_overflow 0
		.amdhsa_tg_split 0
		.amdhsa_exception_fp_ieee_invalid_op 0
		.amdhsa_exception_fp_denorm_src 0
		.amdhsa_exception_fp_ieee_div_zero 0
		.amdhsa_exception_fp_ieee_overflow 0
		.amdhsa_exception_fp_ieee_underflow 0
		.amdhsa_exception_fp_ieee_inexact 0
		.amdhsa_exception_int_div_zero 0
	.end_amdhsa_kernel
	.text
.Lfunc_end1:
	.size	_Z18kernel_128_one_512PKfS0_S0_S0_Pf, .Lfunc_end1-_Z18kernel_128_one_512PKfS0_S0_S0_Pf
                                        ; -- End function
	.set _Z18kernel_128_one_512PKfS0_S0_S0_Pf.num_vgpr, 52
	.set _Z18kernel_128_one_512PKfS0_S0_S0_Pf.num_agpr, 0
	.set _Z18kernel_128_one_512PKfS0_S0_S0_Pf.numbered_sgpr, 12
	.set _Z18kernel_128_one_512PKfS0_S0_S0_Pf.num_named_barrier, 0
	.set _Z18kernel_128_one_512PKfS0_S0_S0_Pf.private_seg_size, 0
	.set _Z18kernel_128_one_512PKfS0_S0_S0_Pf.uses_vcc, 0
	.set _Z18kernel_128_one_512PKfS0_S0_S0_Pf.uses_flat_scratch, 0
	.set _Z18kernel_128_one_512PKfS0_S0_S0_Pf.has_dyn_sized_stack, 0
	.set _Z18kernel_128_one_512PKfS0_S0_S0_Pf.has_recursion, 0
	.set _Z18kernel_128_one_512PKfS0_S0_S0_Pf.has_indirect_call, 0
	.section	.AMDGPU.csdata,"",@progbits
; Kernel info:
; codeLenInByte = 2504
; TotalNumSgprs: 18
; NumVgprs: 52
; NumAgprs: 0
; TotalNumVgprs: 52
; ScratchSize: 0
; MemoryBound: 0
; FloatMode: 240
; IeeeMode: 1
; LDSByteSize: 0 bytes/workgroup (compile time only)
; SGPRBlocks: 2
; VGPRBlocks: 6
; NumSGPRsForWavesPerEU: 18
; NumVGPRsForWavesPerEU: 52
; AccumOffset: 52
; Occupancy: 8
; WaveLimiterHint : 0
; COMPUTE_PGM_RSRC2:SCRATCH_EN: 0
; COMPUTE_PGM_RSRC2:USER_SGPR: 2
; COMPUTE_PGM_RSRC2:TRAP_HANDLER: 0
; COMPUTE_PGM_RSRC2:TGID_X_EN: 1
; COMPUTE_PGM_RSRC2:TGID_Y_EN: 1
; COMPUTE_PGM_RSRC2:TGID_Z_EN: 0
; COMPUTE_PGM_RSRC2:TIDIG_COMP_CNT: 1
; COMPUTE_PGM_RSRC3_GFX90A:ACCUM_OFFSET: 12
; COMPUTE_PGM_RSRC3_GFX90A:TG_SPLIT: 0
	.text
	.p2alignl 6, 3212836864
	.fill 256, 4, 3212836864
	.section	.AMDGPU.gpr_maximums,"",@progbits
	.set amdgpu.max_num_vgpr, 0
	.set amdgpu.max_num_agpr, 0
	.set amdgpu.max_num_sgpr, 0
	.text
	.type	__hip_cuid_da9682f0d8ead5c,@object ; @__hip_cuid_da9682f0d8ead5c
	.section	.bss,"aw",@nobits
	.globl	__hip_cuid_da9682f0d8ead5c
__hip_cuid_da9682f0d8ead5c:
	.byte	0                               ; 0x0
	.size	__hip_cuid_da9682f0d8ead5c, 1

	.ident	"AMD clang version 22.0.0git (https://github.com/RadeonOpenCompute/llvm-project roc-7.2.4 26084 f58b06dce1f9c15707c5f808fd002e18c2accf7e)"
	.section	".note.GNU-stack","",@progbits
	.addrsig
	.addrsig_sym __hip_cuid_da9682f0d8ead5c
	.amdgpu_metadata
---
amdhsa.kernels:
  - .agpr_count:     0
    .args:
      - .actual_access:  read_only
        .address_space:  global
        .offset:         0
        .size:           8
        .value_kind:     global_buffer
      - .actual_access:  read_only
        .address_space:  global
        .offset:         8
        .size:           8
        .value_kind:     global_buffer
      - .actual_access:  read_only
        .address_space:  global
        .offset:         16
        .size:           8
        .value_kind:     global_buffer
      - .actual_access:  read_only
        .address_space:  global
        .offset:         24
        .size:           8
        .value_kind:     global_buffer
      - .actual_access:  write_only
        .address_space:  global
        .offset:         32
        .size:           8
        .value_kind:     global_buffer
    .group_segment_fixed_size: 0
    .kernarg_segment_align: 8
    .kernarg_segment_size: 40
    .language:       OpenCL C
    .language_version:
      - 2
      - 0
    .max_flat_workgroup_size: 1024
    .name:           _Z18kernel_512_one_128PKfS0_S0_S0_Pf
    .private_segment_fixed_size: 0
    .sgpr_count:     18
    .sgpr_spill_count: 0
    .symbol:         _Z18kernel_512_one_128PKfS0_S0_S0_Pf.kd
    .uniform_work_group_size: 1
    .uses_dynamic_stack: false
    .vgpr_count:     29
    .vgpr_spill_count: 0
    .wavefront_size: 64
  - .agpr_count:     0
    .args:
      - .actual_access:  read_only
        .address_space:  global
        .offset:         0
        .size:           8
        .value_kind:     global_buffer
      - .actual_access:  read_only
        .address_space:  global
        .offset:         8
        .size:           8
        .value_kind:     global_buffer
      - .actual_access:  read_only
        .address_space:  global
        .offset:         16
        .size:           8
        .value_kind:     global_buffer
      - .actual_access:  read_only
        .address_space:  global
        .offset:         24
        .size:           8
        .value_kind:     global_buffer
      - .actual_access:  write_only
        .address_space:  global
        .offset:         32
        .size:           8
        .value_kind:     global_buffer
    .group_segment_fixed_size: 0
    .kernarg_segment_align: 8
    .kernarg_segment_size: 40
    .language:       OpenCL C
    .language_version:
      - 2
      - 0
    .max_flat_workgroup_size: 1024
    .name:           _Z18kernel_128_one_512PKfS0_S0_S0_Pf
    .private_segment_fixed_size: 0
    .sgpr_count:     18
    .sgpr_spill_count: 0
    .symbol:         _Z18kernel_128_one_512PKfS0_S0_S0_Pf.kd
    .uniform_work_group_size: 1
    .uses_dynamic_stack: false
    .vgpr_count:     52
    .vgpr_spill_count: 0
    .wavefront_size: 64
amdhsa.target:   amdgcn-amd-amdhsa--gfx950
amdhsa.version:
  - 1
  - 2
...

	.end_amdgpu_metadata
